;; amdgpu-corpus repo=ROCm/rocFFT kind=compiled arch=gfx1030 opt=O3
	.text
	.amdgcn_target "amdgcn-amd-amdhsa--gfx1030"
	.amdhsa_code_object_version 6
	.protected	fft_rtc_fwd_len70_factors_2_5_7_wgs_252_tpt_14_halfLds_half_op_CI_CI_unitstride_sbrr_R2C_dirReg ; -- Begin function fft_rtc_fwd_len70_factors_2_5_7_wgs_252_tpt_14_halfLds_half_op_CI_CI_unitstride_sbrr_R2C_dirReg
	.globl	fft_rtc_fwd_len70_factors_2_5_7_wgs_252_tpt_14_halfLds_half_op_CI_CI_unitstride_sbrr_R2C_dirReg
	.p2align	8
	.type	fft_rtc_fwd_len70_factors_2_5_7_wgs_252_tpt_14_halfLds_half_op_CI_CI_unitstride_sbrr_R2C_dirReg,@function
fft_rtc_fwd_len70_factors_2_5_7_wgs_252_tpt_14_halfLds_half_op_CI_CI_unitstride_sbrr_R2C_dirReg: ; @fft_rtc_fwd_len70_factors_2_5_7_wgs_252_tpt_14_halfLds_half_op_CI_CI_unitstride_sbrr_R2C_dirReg
; %bb.0:
	s_load_dwordx4 s[12:15], s[4:5], 0x0
	v_mul_u32_u24_e32 v1, 0x124a, v0
	s_clause 0x1
	s_load_dwordx4 s[8:11], s[4:5], 0x58
	s_load_dwordx4 s[16:19], s[4:5], 0x18
	v_mov_b32_e32 v7, 0
	v_mov_b32_e32 v9, 0
	;; [unrolled: 1-line block ×3, first 2 shown]
	v_lshrrev_b32_e32 v1, 16, v1
	v_mad_u64_u32 v[5:6], null, s6, 18, v[1:2]
	v_mov_b32_e32 v6, v7
	v_mov_b32_e32 v1, v9
	;; [unrolled: 1-line block ×4, first 2 shown]
	s_waitcnt lgkmcnt(0)
	v_cmp_lt_u64_e64 s0, s[14:15], 2
	v_mov_b32_e32 v4, v6
	s_and_b32 vcc_lo, exec_lo, s0
	s_cbranch_vccnz .LBB0_8
; %bb.1:
	s_load_dwordx2 s[0:1], s[4:5], 0x10
	v_mov_b32_e32 v9, 0
	v_mov_b32_e32 v10, 0
	s_add_u32 s2, s18, 8
	v_mov_b32_e32 v12, v6
	s_addc_u32 s3, s19, 0
	v_mov_b32_e32 v1, v9
	v_mov_b32_e32 v11, v5
	s_add_u32 s6, s16, 8
	v_mov_b32_e32 v2, v10
	s_addc_u32 s7, s17, 0
	s_mov_b64 s[22:23], 1
	s_waitcnt lgkmcnt(0)
	s_add_u32 s20, s0, 8
	s_addc_u32 s21, s1, 0
.LBB0_2:                                ; =>This Inner Loop Header: Depth=1
	s_load_dwordx2 s[24:25], s[20:21], 0x0
                                        ; implicit-def: $vgpr3_vgpr4
	s_mov_b32 s0, exec_lo
	s_waitcnt lgkmcnt(0)
	v_or_b32_e32 v8, s25, v12
	v_cmpx_ne_u64_e32 0, v[7:8]
	s_xor_b32 s1, exec_lo, s0
	s_cbranch_execz .LBB0_4
; %bb.3:                                ;   in Loop: Header=BB0_2 Depth=1
	v_cvt_f32_u32_e32 v3, s24
	v_cvt_f32_u32_e32 v4, s25
	s_sub_u32 s0, 0, s24
	s_subb_u32 s26, 0, s25
	v_fmac_f32_e32 v3, 0x4f800000, v4
	v_rcp_f32_e32 v3, v3
	v_mul_f32_e32 v3, 0x5f7ffffc, v3
	v_mul_f32_e32 v4, 0x2f800000, v3
	v_trunc_f32_e32 v4, v4
	v_fmac_f32_e32 v3, 0xcf800000, v4
	v_cvt_u32_f32_e32 v4, v4
	v_cvt_u32_f32_e32 v3, v3
	v_mul_lo_u32 v6, s0, v4
	v_mul_hi_u32 v8, s0, v3
	v_mul_lo_u32 v13, s26, v3
	v_add_nc_u32_e32 v6, v8, v6
	v_mul_lo_u32 v8, s0, v3
	v_add_nc_u32_e32 v6, v6, v13
	v_mul_hi_u32 v13, v3, v8
	v_mul_lo_u32 v14, v3, v6
	v_mul_hi_u32 v15, v3, v6
	v_mul_hi_u32 v16, v4, v8
	v_mul_lo_u32 v8, v4, v8
	v_mul_hi_u32 v17, v4, v6
	v_mul_lo_u32 v6, v4, v6
	v_add_co_u32 v13, vcc_lo, v13, v14
	v_add_co_ci_u32_e32 v14, vcc_lo, 0, v15, vcc_lo
	v_add_co_u32 v8, vcc_lo, v13, v8
	v_add_co_ci_u32_e32 v8, vcc_lo, v14, v16, vcc_lo
	v_add_co_ci_u32_e32 v13, vcc_lo, 0, v17, vcc_lo
	v_add_co_u32 v6, vcc_lo, v8, v6
	v_add_co_ci_u32_e32 v8, vcc_lo, 0, v13, vcc_lo
	v_add_co_u32 v3, vcc_lo, v3, v6
	v_add_co_ci_u32_e32 v4, vcc_lo, v4, v8, vcc_lo
	v_mul_hi_u32 v6, s0, v3
	v_mul_lo_u32 v13, s26, v3
	v_mul_lo_u32 v8, s0, v4
	v_add_nc_u32_e32 v6, v6, v8
	v_mul_lo_u32 v8, s0, v3
	v_add_nc_u32_e32 v6, v6, v13
	v_mul_hi_u32 v13, v3, v8
	v_mul_lo_u32 v14, v3, v6
	v_mul_hi_u32 v15, v3, v6
	v_mul_hi_u32 v16, v4, v8
	v_mul_lo_u32 v8, v4, v8
	v_mul_hi_u32 v17, v4, v6
	v_mul_lo_u32 v6, v4, v6
	v_add_co_u32 v13, vcc_lo, v13, v14
	v_add_co_ci_u32_e32 v14, vcc_lo, 0, v15, vcc_lo
	v_add_co_u32 v8, vcc_lo, v13, v8
	v_add_co_ci_u32_e32 v8, vcc_lo, v14, v16, vcc_lo
	v_add_co_ci_u32_e32 v13, vcc_lo, 0, v17, vcc_lo
	v_add_co_u32 v6, vcc_lo, v8, v6
	v_add_co_ci_u32_e32 v8, vcc_lo, 0, v13, vcc_lo
	v_add_co_u32 v6, vcc_lo, v3, v6
	v_add_co_ci_u32_e32 v8, vcc_lo, v4, v8, vcc_lo
	v_mul_hi_u32 v17, v11, v6
	v_mad_u64_u32 v[13:14], null, v12, v6, 0
	v_mad_u64_u32 v[3:4], null, v11, v8, 0
	;; [unrolled: 1-line block ×3, first 2 shown]
	v_add_co_u32 v3, vcc_lo, v17, v3
	v_add_co_ci_u32_e32 v4, vcc_lo, 0, v4, vcc_lo
	v_add_co_u32 v3, vcc_lo, v3, v13
	v_add_co_ci_u32_e32 v3, vcc_lo, v4, v14, vcc_lo
	v_add_co_ci_u32_e32 v4, vcc_lo, 0, v16, vcc_lo
	v_add_co_u32 v6, vcc_lo, v3, v15
	v_add_co_ci_u32_e32 v8, vcc_lo, 0, v4, vcc_lo
	v_mul_lo_u32 v13, s25, v6
	v_mad_u64_u32 v[3:4], null, s24, v6, 0
	v_mul_lo_u32 v14, s24, v8
	v_sub_co_u32 v3, vcc_lo, v11, v3
	v_add3_u32 v4, v4, v14, v13
	v_sub_nc_u32_e32 v13, v12, v4
	v_subrev_co_ci_u32_e64 v13, s0, s25, v13, vcc_lo
	v_add_co_u32 v14, s0, v6, 2
	v_add_co_ci_u32_e64 v15, s0, 0, v8, s0
	v_sub_co_u32 v16, s0, v3, s24
	v_sub_co_ci_u32_e32 v4, vcc_lo, v12, v4, vcc_lo
	v_subrev_co_ci_u32_e64 v13, s0, 0, v13, s0
	v_cmp_le_u32_e32 vcc_lo, s24, v16
	v_cmp_eq_u32_e64 s0, s25, v4
	v_cndmask_b32_e64 v16, 0, -1, vcc_lo
	v_cmp_le_u32_e32 vcc_lo, s25, v13
	v_cndmask_b32_e64 v17, 0, -1, vcc_lo
	v_cmp_le_u32_e32 vcc_lo, s24, v3
	;; [unrolled: 2-line block ×3, first 2 shown]
	v_cndmask_b32_e64 v18, 0, -1, vcc_lo
	v_cmp_eq_u32_e32 vcc_lo, s25, v13
	v_cndmask_b32_e64 v3, v18, v3, s0
	v_cndmask_b32_e32 v13, v17, v16, vcc_lo
	v_add_co_u32 v16, vcc_lo, v6, 1
	v_add_co_ci_u32_e32 v17, vcc_lo, 0, v8, vcc_lo
	v_cmp_ne_u32_e32 vcc_lo, 0, v13
	v_cndmask_b32_e32 v4, v17, v15, vcc_lo
	v_cndmask_b32_e32 v13, v16, v14, vcc_lo
	v_cmp_ne_u32_e32 vcc_lo, 0, v3
	v_cndmask_b32_e32 v4, v8, v4, vcc_lo
	v_cndmask_b32_e32 v3, v6, v13, vcc_lo
.LBB0_4:                                ;   in Loop: Header=BB0_2 Depth=1
	s_andn2_saveexec_b32 s0, s1
	s_cbranch_execz .LBB0_6
; %bb.5:                                ;   in Loop: Header=BB0_2 Depth=1
	v_cvt_f32_u32_e32 v3, s24
	s_sub_i32 s1, 0, s24
	v_rcp_iflag_f32_e32 v3, v3
	v_mul_f32_e32 v3, 0x4f7ffffe, v3
	v_cvt_u32_f32_e32 v3, v3
	v_mul_lo_u32 v4, s1, v3
	v_mul_hi_u32 v4, v3, v4
	v_add_nc_u32_e32 v3, v3, v4
	v_mul_hi_u32 v3, v11, v3
	v_mul_lo_u32 v4, v3, s24
	v_add_nc_u32_e32 v6, 1, v3
	v_sub_nc_u32_e32 v4, v11, v4
	v_subrev_nc_u32_e32 v8, s24, v4
	v_cmp_le_u32_e32 vcc_lo, s24, v4
	v_cndmask_b32_e32 v4, v4, v8, vcc_lo
	v_cndmask_b32_e32 v3, v3, v6, vcc_lo
	v_cmp_le_u32_e32 vcc_lo, s24, v4
	v_add_nc_u32_e32 v6, 1, v3
	v_mov_b32_e32 v4, v7
	v_cndmask_b32_e32 v3, v3, v6, vcc_lo
.LBB0_6:                                ;   in Loop: Header=BB0_2 Depth=1
	s_or_b32 exec_lo, exec_lo, s0
	v_mul_lo_u32 v6, v4, s24
	v_mul_lo_u32 v8, v3, s25
	s_load_dwordx2 s[0:1], s[6:7], 0x0
	v_mad_u64_u32 v[13:14], null, v3, s24, 0
	s_load_dwordx2 s[24:25], s[2:3], 0x0
	s_add_u32 s22, s22, 1
	s_addc_u32 s23, s23, 0
	s_add_u32 s2, s2, 8
	s_addc_u32 s3, s3, 0
	s_add_u32 s6, s6, 8
	v_add3_u32 v6, v14, v8, v6
	v_sub_co_u32 v8, vcc_lo, v11, v13
	s_addc_u32 s7, s7, 0
	s_add_u32 s20, s20, 8
	v_sub_co_ci_u32_e32 v6, vcc_lo, v12, v6, vcc_lo
	s_addc_u32 s21, s21, 0
	s_waitcnt lgkmcnt(0)
	v_mul_lo_u32 v11, s0, v6
	v_mul_lo_u32 v12, s1, v8
	v_mad_u64_u32 v[9:10], null, s0, v8, v[9:10]
	v_mul_lo_u32 v6, s24, v6
	v_mul_lo_u32 v13, s25, v8
	v_mad_u64_u32 v[1:2], null, s24, v8, v[1:2]
	v_cmp_ge_u64_e64 s0, s[22:23], s[14:15]
	v_add3_u32 v10, v12, v10, v11
	v_add3_u32 v2, v13, v2, v6
	s_and_b32 vcc_lo, exec_lo, s0
	s_cbranch_vccnz .LBB0_8
; %bb.7:                                ;   in Loop: Header=BB0_2 Depth=1
	v_mov_b32_e32 v12, v4
	v_mov_b32_e32 v11, v3
	s_branch .LBB0_2
.LBB0_8:
	s_load_dwordx2 s[0:1], s[4:5], 0x28
	v_mul_hi_u32 v6, 0x38e38e39, v5
	s_lshl_b64 s[4:5], s[14:15], 3
                                        ; implicit-def: $vgpr8
	s_add_u32 s2, s18, s4
	s_addc_u32 s3, s19, s5
	v_lshrrev_b32_e32 v6, 2, v6
	v_mul_lo_u32 v7, v6, 18
	v_mul_hi_u32 v6, 0x12492493, v0
	s_waitcnt lgkmcnt(0)
	v_cmp_gt_u64_e32 vcc_lo, s[0:1], v[3:4]
	v_cmp_le_u64_e64 s0, s[0:1], v[3:4]
	v_sub_nc_u32_e32 v11, v5, v7
                                        ; implicit-def: $vgpr5
                                        ; implicit-def: $vgpr7
	s_and_saveexec_b32 s1, s0
	s_xor_b32 s0, exec_lo, s1
; %bb.9:
	v_mul_u32_u24_e32 v5, 14, v6
                                        ; implicit-def: $vgpr6
                                        ; implicit-def: $vgpr9_vgpr10
	v_sub_nc_u32_e32 v5, v0, v5
                                        ; implicit-def: $vgpr0
	v_add_nc_u32_e32 v8, 14, v5
	v_add_nc_u32_e32 v7, 28, v5
; %bb.10:
	s_or_saveexec_b32 s1, s0
	v_mul_u32_u24_e32 v11, 0x47, v11
	v_lshlrev_b32_e32 v12, 2, v11
	s_xor_b32 exec_lo, exec_lo, s1
	s_cbranch_execz .LBB0_12
; %bb.11:
	s_add_u32 s4, s16, s4
	s_addc_u32 s5, s17, s5
	s_load_dwordx2 s[4:5], s[4:5], 0x0
	s_waitcnt lgkmcnt(0)
	v_mul_lo_u32 v5, s5, v3
	v_mul_lo_u32 v11, s4, v4
	v_mad_u64_u32 v[7:8], null, s4, v3, 0
	v_add3_u32 v8, v8, v11, v5
	v_mul_u32_u24_e32 v5, 14, v6
	v_lshlrev_b64 v[6:7], 2, v[7:8]
	v_lshlrev_b64 v[8:9], 2, v[9:10]
	v_sub_nc_u32_e32 v5, v0, v5
	v_add_co_u32 v0, s0, s8, v6
	v_add_co_ci_u32_e64 v6, s0, s9, v7, s0
	v_lshlrev_b32_e32 v10, 2, v5
	v_add_co_u32 v0, s0, v0, v8
	v_add_co_ci_u32_e64 v7, s0, v6, v9, s0
	v_add_nc_u32_e32 v8, 14, v5
	v_add_co_u32 v6, s0, v0, v10
	v_add_co_ci_u32_e64 v7, s0, 0, v7, s0
	v_add3_u32 v10, 0, v12, v10
	s_clause 0x4
	global_load_dword v0, v[6:7], off
	global_load_dword v9, v[6:7], off offset:56
	global_load_dword v11, v[6:7], off offset:112
	global_load_dword v13, v[6:7], off offset:168
	global_load_dword v6, v[6:7], off offset:224
	v_add_nc_u32_e32 v7, 28, v5
	s_waitcnt vmcnt(3)
	ds_write2_b32 v10, v0, v9 offset1:14
	s_waitcnt vmcnt(1)
	ds_write2_b32 v10, v11, v13 offset0:28 offset1:42
	s_waitcnt vmcnt(0)
	ds_write_b32 v10, v6 offset:224
.LBB0_12:
	s_or_b32 exec_lo, exec_lo, s1
	v_lshlrev_b32_e32 v6, 2, v5
	v_add_nc_u32_e32 v0, 0, v12
	s_load_dwordx2 s[2:3], s[2:3], 0x0
	s_waitcnt lgkmcnt(0)
	s_barrier
	v_add3_u32 v16, 0, v6, v12
	v_add_nc_u32_e32 v15, v0, v6
	buffer_gl0_inv
	v_lshl_add_u32 v11, v8, 3, 0
	v_cmp_gt_u32_e64 s0, 7, v5
	ds_read2_b32 v[13:14], v16 offset0:35 offset1:49
	ds_read_b32 v17, v15
	ds_read2_b32 v[9:10], v16 offset0:14 offset1:28
	ds_read_b32 v18, v16 offset:252
	v_add_nc_u32_e32 v20, v16, v6
	s_waitcnt lgkmcnt(0)
	v_add_nc_u32_e32 v19, v11, v12
	s_barrier
	buffer_gl0_inv
	v_pk_add_f16 v13, v17, v13 neg_lo:[0,1] neg_hi:[0,1]
	v_pk_add_f16 v14, v9, v14 neg_lo:[0,1] neg_hi:[0,1]
	v_pk_fma_f16 v17, v17, 2.0, v13 op_sel_hi:[1,0,1] neg_lo:[0,0,1] neg_hi:[0,0,1]
	v_pk_fma_f16 v21, v9, 2.0, v14 op_sel_hi:[1,0,1] neg_lo:[0,0,1] neg_hi:[0,0,1]
	v_pk_add_f16 v9, v10, v18 neg_lo:[0,1] neg_hi:[0,1]
	ds_write2_b32 v20, v17, v13 offset1:1
	ds_write2_b32 v19, v21, v14 offset1:1
	s_and_saveexec_b32 s1, s0
	s_cbranch_execz .LBB0_14
; %bb.13:
	v_lshlrev_b32_e32 v13, 3, v7
	v_pk_fma_f16 v10, v10, 2.0, v9 op_sel_hi:[1,0,1] neg_lo:[0,0,1] neg_hi:[0,0,1]
	v_add3_u32 v13, 0, v13, v12
	ds_write2_b32 v13, v10, v9 offset1:1
.LBB0_14:
	s_or_b32 exec_lo, exec_lo, s1
	v_and_b32_e32 v10, 1, v5
	s_waitcnt lgkmcnt(0)
	s_barrier
	buffer_gl0_inv
	v_cmp_gt_u32_e64 s1, 10, v5
	v_lshlrev_b32_e32 v13, 4, v10
	v_lshrrev_b32_e32 v20, 16, v9
	global_load_dwordx4 v[21:24], v13, s[12:13]
	v_lshlrev_b32_e32 v13, 2, v8
	v_sub_nc_u32_e32 v11, v11, v13
	v_lshlrev_b32_e32 v13, 2, v7
	v_add_nc_u32_e32 v11, v11, v12
	v_add3_u32 v17, 0, v13, v12
	ds_read_b32 v18, v11
	ds_read2_b32 v[13:14], v16 offset0:42 offset1:56
	ds_read_b32 v17, v17
	v_lshrrev_b32_e32 v11, 1, v5
	v_mul_u32_u24_e32 v11, 10, v11
	v_or_b32_e32 v10, v11, v10
	ds_read_b32 v11, v15
	ds_read_u16 v19, v15 offset:2
	s_waitcnt vmcnt(0) lgkmcnt(0)
	s_barrier
	buffer_gl0_inv
	v_lshlrev_b32_e32 v10, 2, v10
	v_lshrrev_b32_e32 v25, 16, v18
	v_lshrrev_b32_e32 v26, 16, v13
	;; [unrolled: 1-line block ×4, first 2 shown]
	v_add3_u32 v10, 0, v10, v12
	v_mul_f16_sdwa v12, v21, v25 dst_sel:DWORD dst_unused:UNUSED_PAD src0_sel:WORD_1 src1_sel:DWORD
	v_mul_f16_sdwa v30, v22, v27 dst_sel:DWORD dst_unused:UNUSED_PAD src0_sel:WORD_1 src1_sel:DWORD
	;; [unrolled: 1-line block ×8, first 2 shown]
	v_fma_f16 v12, v21, v18, -v12
	v_fma_f16 v17, v22, v17, -v30
	v_fmac_f16_e32 v31, v22, v27
	v_fma_f16 v13, v23, v13, -v32
	v_fmac_f16_e32 v33, v23, v26
	v_fmac_f16_e32 v29, v21, v25
	;; [unrolled: 1-line block ×3, first 2 shown]
	v_fma_f16 v18, v24, v14, -v34
	v_add_f16_e32 v14, v12, v11
	v_add_f16_e32 v21, v17, v13
	;; [unrolled: 1-line block ×5, first 2 shown]
	v_sub_f16_e32 v24, v29, v35
	v_sub_f16_e32 v22, v12, v17
	;; [unrolled: 1-line block ×5, first 2 shown]
	v_add_f16_e32 v30, v19, v29
	v_sub_f16_e32 v34, v12, v18
	v_sub_f16_e32 v37, v29, v31
	;; [unrolled: 1-line block ×4, first 2 shown]
	v_add_f16_e32 v14, v14, v17
	v_fma_f16 v12, -0.5, v21, v11
	v_fma_f16 v21, -0.5, v32, v19
	v_sub_f16_e32 v25, v31, v33
	v_sub_f16_e32 v36, v17, v13
	v_fmac_f16_e32 v11, -0.5, v26
	v_fmac_f16_e32 v19, -0.5, v39
	v_sub_f16_e32 v38, v35, v33
	v_add_f16_e32 v41, v22, v23
	v_add_f16_e32 v26, v27, v28
	;; [unrolled: 1-line block ×5, first 2 shown]
	v_fmamk_f16 v13, v24, 0x3b9c, v12
	v_fmamk_f16 v23, v34, 0xbb9c, v21
	;; [unrolled: 1-line block ×3, first 2 shown]
	v_fmac_f16_e32 v11, 0x3b9c, v25
	v_fmamk_f16 v22, v36, 0x3b9c, v19
	v_fmac_f16_e32 v19, 0xbb9c, v36
	v_fmac_f16_e32 v12, 0xbb9c, v24
	;; [unrolled: 1-line block ×3, first 2 shown]
	v_add_f16_e32 v27, v37, v38
	v_add_f16_e32 v30, v17, v33
	v_fmac_f16_e32 v13, 0x38b4, v25
	v_fmac_f16_e32 v23, 0xb8b4, v36
	;; [unrolled: 1-line block ×8, first 2 shown]
	v_add_f16_e32 v17, v29, v18
	v_add_f16_e32 v18, v30, v35
	v_fmac_f16_e32 v13, 0x34f2, v41
	v_fmac_f16_e32 v23, 0x34f2, v27
	;; [unrolled: 1-line block ×8, first 2 shown]
	v_pack_b32_f16 v24, v17, v18
	v_pack_b32_f16 v25, v13, v23
	;; [unrolled: 1-line block ×5, first 2 shown]
	ds_write2_b32 v10, v24, v25 offset1:2
	ds_write2_b32 v10, v26, v27 offset0:4 offset1:6
	ds_write_b32 v10, v28 offset:32
	s_waitcnt lgkmcnt(0)
	s_barrier
	buffer_gl0_inv
                                        ; implicit-def: $vgpr24
	s_and_saveexec_b32 s4, s1
	s_cbranch_execz .LBB0_16
; %bb.15:
	ds_read_b32 v17, v15
	ds_read2_b32 v[13:14], v16 offset0:10 offset1:20
	ds_read2_b32 v[11:12], v16 offset0:30 offset1:40
	;; [unrolled: 1-line block ×3, first 2 shown]
	s_waitcnt lgkmcnt(3)
	v_lshrrev_b32_e32 v18, 16, v17
	s_waitcnt lgkmcnt(2)
	v_lshrrev_b32_e32 v23, 16, v13
	v_lshrrev_b32_e32 v22, 16, v14
	s_waitcnt lgkmcnt(1)
	v_lshrrev_b32_e32 v19, 16, v11
	;; [unrolled: 3-line block ×3, first 2 shown]
	v_lshrrev_b32_e32 v24, 16, v10
.LBB0_16:
	s_or_b32 exec_lo, exec_lo, s4
	s_barrier
	buffer_gl0_inv
	s_and_saveexec_b32 s4, s1
	s_cbranch_execz .LBB0_18
; %bb.17:
	v_add_nc_u32_e32 v25, -10, v5
	v_mov_b32_e32 v26, 0
	v_cndmask_b32_e64 v25, v25, v5, s1
	v_mul_i32_i24_e32 v25, 6, v25
	v_lshlrev_b64 v[25:26], 2, v[25:26]
	v_add_co_u32 v29, s1, s12, v25
	v_add_co_ci_u32_e64 v30, s1, s13, v26, s1
	s_clause 0x1
	global_load_dwordx4 v[25:28], v[29:30], off offset:32
	global_load_dwordx2 v[29:30], v[29:30], off offset:48
	s_waitcnt vmcnt(1)
	v_mul_f16_sdwa v31, v23, v25 dst_sel:DWORD dst_unused:UNUSED_PAD src0_sel:DWORD src1_sel:WORD_1
	s_waitcnt vmcnt(0)
	v_mul_f16_sdwa v32, v24, v30 dst_sel:DWORD dst_unused:UNUSED_PAD src0_sel:DWORD src1_sel:WORD_1
	v_mul_f16_sdwa v35, v22, v26 dst_sel:DWORD dst_unused:UNUSED_PAD src0_sel:DWORD src1_sel:WORD_1
	v_mul_f16_sdwa v36, v20, v29 dst_sel:DWORD dst_unused:UNUSED_PAD src0_sel:DWORD src1_sel:WORD_1
	v_mul_f16_sdwa v37, v10, v30 dst_sel:DWORD dst_unused:UNUSED_PAD src0_sel:DWORD src1_sel:WORD_1
	v_mul_f16_sdwa v38, v13, v25 dst_sel:DWORD dst_unused:UNUSED_PAD src0_sel:DWORD src1_sel:WORD_1
	v_mul_f16_sdwa v41, v9, v29 dst_sel:DWORD dst_unused:UNUSED_PAD src0_sel:DWORD src1_sel:WORD_1
	v_mul_f16_sdwa v42, v14, v26 dst_sel:DWORD dst_unused:UNUSED_PAD src0_sel:DWORD src1_sel:WORD_1
	v_mul_f16_sdwa v33, v21, v28 dst_sel:DWORD dst_unused:UNUSED_PAD src0_sel:DWORD src1_sel:WORD_1
	v_mul_f16_sdwa v34, v19, v27 dst_sel:DWORD dst_unused:UNUSED_PAD src0_sel:DWORD src1_sel:WORD_1
	v_mul_f16_sdwa v39, v11, v27 dst_sel:DWORD dst_unused:UNUSED_PAD src0_sel:DWORD src1_sel:WORD_1
	v_mul_f16_sdwa v40, v12, v28 dst_sel:DWORD dst_unused:UNUSED_PAD src0_sel:DWORD src1_sel:WORD_1
	v_fma_f16 v13, v13, v25, -v31
	v_fma_f16 v10, v10, v30, -v32
	;; [unrolled: 1-line block ×4, first 2 shown]
	v_fmac_f16_e32 v37, v24, v30
	v_fmac_f16_e32 v38, v23, v25
	;; [unrolled: 1-line block ×4, first 2 shown]
	v_fma_f16 v12, v12, v28, -v33
	v_fma_f16 v11, v11, v27, -v34
	v_fmac_f16_e32 v39, v19, v27
	v_fmac_f16_e32 v40, v21, v28
	v_sub_f16_e32 v19, v13, v10
	v_sub_f16_e32 v21, v14, v9
	v_add_f16_e32 v22, v38, v37
	v_add_f16_e32 v24, v42, v41
	;; [unrolled: 1-line block ×4, first 2 shown]
	v_sub_f16_e32 v20, v12, v11
	v_add_f16_e32 v23, v39, v40
	v_add_f16_e32 v11, v11, v12
	v_sub_f16_e32 v12, v38, v37
	v_sub_f16_e32 v13, v40, v39
	;; [unrolled: 1-line block ×3, first 2 shown]
	v_add_f16_e32 v29, v24, v22
	v_add_f16_e32 v32, v9, v10
	v_sub_f16_e32 v25, v19, v20
	v_sub_f16_e32 v26, v20, v21
	v_add_f16_e32 v20, v20, v21
	v_sub_f16_e32 v27, v22, v23
	v_sub_f16_e32 v28, v23, v24
	;; [unrolled: 1-line block ×6, first 2 shown]
	v_add_f16_e32 v13, v13, v14
	v_sub_f16_e32 v21, v21, v19
	v_sub_f16_e32 v9, v9, v10
	;; [unrolled: 1-line block ×3, first 2 shown]
	v_add_f16_e32 v23, v23, v29
	v_add_f16_e32 v11, v11, v32
	v_sub_f16_e32 v22, v24, v22
	v_mul_f16_e32 v14, 0xb846, v26
	v_add_f16_e32 v19, v20, v19
	v_mul_f16_e32 v20, 0x3a52, v27
	v_mul_f16_e32 v26, 0x3a52, v30
	;; [unrolled: 1-line block ×3, first 2 shown]
	v_add_f16_e32 v12, v13, v12
	v_mul_f16_e32 v13, 0x3b00, v21
	v_mul_f16_e32 v30, 0x3b00, v10
	v_add_f16_e32 v18, v18, v23
	v_add_f16_e32 v17, v17, v11
	v_mul_f16_e32 v24, 0x2b26, v28
	v_mul_f16_e32 v27, 0x2b26, v31
	v_fmamk_f16 v32, v25, 0x3574, v14
	v_fmamk_f16 v28, v28, 0x2b26, v20
	;; [unrolled: 1-line block ×4, first 2 shown]
	v_fma_f16 v13, v25, 0xb574, -v13
	v_fma_f16 v20, v22, 0xb9e0, -v20
	;; [unrolled: 1-line block ×6, first 2 shown]
	v_fmamk_f16 v21, v23, 0xbcab, v18
	v_fmamk_f16 v11, v11, 0xbcab, v17
	v_fma_f16 v22, v22, 0x39e0, -v24
	v_fma_f16 v9, v9, 0x39e0, -v27
	v_fmac_f16_e32 v32, 0x370e, v19
	v_fmac_f16_e32 v34, 0x370e, v12
	;; [unrolled: 1-line block ×6, first 2 shown]
	v_pack_b32_f16 v12, v17, v18
	v_add_f16_e32 v17, v28, v21
	v_add_f16_e32 v18, v31, v11
	;; [unrolled: 1-line block ×7, first 2 shown]
	v_sub_f16_e32 v22, v18, v34
	v_add_f16_e32 v23, v13, v19
	v_sub_f16_e32 v13, v19, v13
	v_sub_f16_e32 v17, v17, v32
	v_add_f16_e32 v18, v34, v18
	v_add_f16_e32 v19, v26, v20
	v_sub_f16_e32 v24, v21, v14
	v_add_f16_e32 v14, v14, v21
	v_sub_f16_e32 v21, v9, v10
	v_add_f16_e32 v9, v10, v9
	v_sub_f16_e32 v10, v20, v26
	v_pack_b32_f16 v17, v18, v17
	v_pack_b32_f16 v13, v19, v13
	;; [unrolled: 1-line block ×6, first 2 shown]
	ds_write_b32 v15, v12
	ds_write2_b32 v16, v17, v13 offset0:10 offset1:20
	ds_write2_b32 v16, v14, v9 offset0:30 offset1:40
	ds_write2_b32 v16, v10, v11 offset0:50 offset1:60
.LBB0_18:
	s_or_b32 exec_lo, exec_lo, s4
	s_waitcnt lgkmcnt(0)
	s_barrier
	buffer_gl0_inv
	ds_read_b32 v9, v15
	v_sub_nc_u32_e32 v10, v0, v6
	s_mov_b32 s4, exec_lo
                                        ; implicit-def: $vgpr11
                                        ; implicit-def: $vgpr6
	v_cmpx_ne_u32_e32 0, v5
	s_xor_b32 s4, exec_lo, s4
	s_cbranch_execz .LBB0_20
; %bb.19:
	v_mov_b32_e32 v6, 0
	v_lshlrev_b64 v[11:12], 2, v[5:6]
	ds_read_b32 v6, v10 offset:280
	v_add_co_u32 v11, s1, s12, v11
	v_add_co_ci_u32_e64 v12, s1, s13, v12, s1
	global_load_dword v11, v[11:12], off offset:272
	s_waitcnt lgkmcnt(0)
	v_sub_f16_e32 v12, v9, v6
	v_add_f16_sdwa v13, v6, v9 dst_sel:DWORD dst_unused:UNUSED_PAD src0_sel:WORD_1 src1_sel:WORD_1
	v_sub_f16_sdwa v14, v9, v6 dst_sel:DWORD dst_unused:UNUSED_PAD src0_sel:WORD_1 src1_sel:WORD_1
	v_add_f16_e32 v9, v6, v9
	v_mul_f16_e32 v12, 0.5, v12
	v_mul_f16_e32 v13, 0.5, v13
	v_mul_f16_e32 v14, 0.5, v14
	s_waitcnt vmcnt(0)
	v_lshrrev_b32_e32 v16, 16, v11
	v_mul_f16_e32 v17, v16, v12
	v_fma_f16 v18, v13, v16, v14
	v_fma_f16 v14, v13, v16, -v14
	v_fma_f16 v6, 0.5, v9, v17
	v_fma_f16 v9, v9, 0.5, -v17
	v_fma_f16 v16, -v11, v12, v18
	v_fma_f16 v12, -v11, v12, v14
	ds_write_b16 v15, v16 offset:2
	ds_write_b16 v10, v12 offset:282
	v_fmac_f16_e32 v6, v11, v13
	v_fma_f16 v11, -v11, v13, v9
                                        ; implicit-def: $vgpr9
.LBB0_20:
	s_andn2_saveexec_b32 s1, s4
	s_cbranch_execz .LBB0_22
; %bb.21:
	v_mov_b32_e32 v6, 0
	ds_write_b16 v15, v6 offset:2
	ds_write_b16 v10, v6 offset:282
	ds_read_u16 v11, v0 offset:142
	s_waitcnt lgkmcnt(3)
	v_add_f16_sdwa v6, v9, v9 dst_sel:DWORD dst_unused:UNUSED_PAD src0_sel:WORD_1 src1_sel:DWORD
	s_waitcnt lgkmcnt(0)
	v_xor_b32_e32 v12, 0x8000, v11
	v_sub_f16_sdwa v11, v9, v9 dst_sel:DWORD dst_unused:UNUSED_PAD src0_sel:DWORD src1_sel:WORD_1
	ds_write_b16 v0, v12 offset:142
.LBB0_22:
	s_or_b32 exec_lo, exec_lo, s1
	s_waitcnt lgkmcnt(0)
	v_mov_b32_e32 v9, 0
	v_lshlrev_b64 v[12:13], 2, v[8:9]
	v_lshl_add_u32 v8, v8, 2, v0
	v_add_co_u32 v12, s1, s12, v12
	v_add_co_ci_u32_e64 v13, s1, s13, v13, s1
	global_load_dword v12, v[12:13], off offset:272
	ds_write_b16 v15, v6
	ds_write_b16 v10, v11 offset:280
	ds_read_b32 v6, v8
	ds_read_b32 v11, v10 offset:224
	s_waitcnt lgkmcnt(0)
	v_pk_add_f16 v13, v6, v11 neg_lo:[0,1] neg_hi:[0,1]
	v_pk_add_f16 v6, v6, v11
	v_bfi_b32 v11, 0xffff, v13, v6
	v_bfi_b32 v6, 0xffff, v6, v13
	v_pk_mul_f16 v11, v11, 0.5 op_sel_hi:[1,0]
	v_pk_mul_f16 v6, v6, 0.5 op_sel_hi:[1,0]
	s_waitcnt vmcnt(0)
	v_pk_fma_f16 v13, v12, v11, v6 op_sel:[1,0,0]
	v_pk_mul_f16 v14, v12, v11 op_sel_hi:[0,1]
	v_pk_fma_f16 v15, v12, v11, v6 op_sel:[1,0,0] neg_lo:[1,0,0] neg_hi:[1,0,0]
	v_pk_fma_f16 v6, v12, v11, v6 op_sel:[1,0,0] neg_lo:[0,0,1] neg_hi:[0,0,1]
	v_pk_add_f16 v11, v13, v14 op_sel:[0,1] op_sel_hi:[1,0]
	v_pk_add_f16 v12, v13, v14 op_sel:[0,1] op_sel_hi:[1,0] neg_lo:[0,1] neg_hi:[0,1]
	v_pk_add_f16 v13, v15, v14 op_sel:[0,1] op_sel_hi:[1,0] neg_lo:[0,1] neg_hi:[0,1]
	;; [unrolled: 1-line block ×3, first 2 shown]
	v_bfi_b32 v11, 0xffff, v11, v12
	v_bfi_b32 v6, 0xffff, v13, v6
	ds_write_b32 v8, v11
	ds_write_b32 v10, v6 offset:224
	s_and_saveexec_b32 s1, s0
	s_cbranch_execz .LBB0_24
; %bb.23:
	v_mov_b32_e32 v8, v9
	v_lshlrev_b64 v[8:9], 2, v[7:8]
	v_lshl_add_u32 v7, v7, 2, v0
	v_add_co_u32 v8, s0, s12, v8
	v_add_co_ci_u32_e64 v9, s0, s13, v9, s0
	global_load_dword v6, v[8:9], off offset:272
	ds_read_b32 v8, v7
	ds_read_b32 v9, v10 offset:168
	s_waitcnt lgkmcnt(0)
	v_pk_add_f16 v11, v8, v9 neg_lo:[0,1] neg_hi:[0,1]
	v_pk_add_f16 v8, v8, v9
	v_bfi_b32 v9, 0xffff, v11, v8
	v_bfi_b32 v8, 0xffff, v8, v11
	v_pk_mul_f16 v9, v9, 0.5 op_sel_hi:[1,0]
	v_pk_mul_f16 v8, v8, 0.5 op_sel_hi:[1,0]
	s_waitcnt vmcnt(0)
	v_pk_fma_f16 v11, v6, v9, v8 op_sel:[1,0,0]
	v_pk_mul_f16 v12, v6, v9 op_sel_hi:[0,1]
	v_pk_fma_f16 v13, v6, v9, v8 op_sel:[1,0,0] neg_lo:[1,0,0] neg_hi:[1,0,0]
	v_pk_fma_f16 v6, v6, v9, v8 op_sel:[1,0,0] neg_lo:[0,0,1] neg_hi:[0,0,1]
	v_pk_add_f16 v8, v11, v12 op_sel:[0,1] op_sel_hi:[1,0]
	v_pk_add_f16 v9, v11, v12 op_sel:[0,1] op_sel_hi:[1,0] neg_lo:[0,1] neg_hi:[0,1]
	v_pk_add_f16 v11, v13, v12 op_sel:[0,1] op_sel_hi:[1,0] neg_lo:[0,1] neg_hi:[0,1]
	;; [unrolled: 1-line block ×3, first 2 shown]
	v_bfi_b32 v8, 0xffff, v8, v9
	v_bfi_b32 v6, 0xffff, v11, v6
	ds_write_b32 v7, v8
	ds_write_b32 v10, v6 offset:168
.LBB0_24:
	s_or_b32 exec_lo, exec_lo, s1
	s_waitcnt lgkmcnt(0)
	s_barrier
	buffer_gl0_inv
	s_and_saveexec_b32 s0, vcc_lo
	s_cbranch_execz .LBB0_27
; %bb.25:
	v_mul_lo_u32 v9, s3, v3
	v_mul_lo_u32 v4, s2, v4
	v_mad_u64_u32 v[7:8], null, s2, v3, 0
	v_lshl_add_u32 v3, v5, 2, v0
	v_mov_b32_e32 v6, 0
	v_lshlrev_b64 v[0:1], 2, v[1:2]
	v_add_nc_u32_e32 v11, 28, v5
	v_add_nc_u32_e32 v13, 42, v5
	ds_read2_b32 v[17:18], v3 offset1:14
	v_add3_u32 v8, v8, v4, v9
	v_lshlrev_b64 v[15:16], 2, v[5:6]
	v_add_nc_u32_e32 v9, 14, v5
	v_mov_b32_e32 v10, v6
	v_mov_b32_e32 v12, v6
	v_lshlrev_b64 v[7:8], 2, v[7:8]
	v_mov_b32_e32 v14, v6
	v_lshlrev_b64 v[11:12], 2, v[11:12]
	v_add_co_u32 v2, vcc_lo, s10, v7
	v_add_co_ci_u32_e32 v4, vcc_lo, s11, v8, vcc_lo
	v_lshlrev_b64 v[7:8], 2, v[9:10]
	v_add_co_u32 v0, vcc_lo, v2, v0
	v_add_co_ci_u32_e32 v1, vcc_lo, v4, v1, vcc_lo
	;; [unrolled: 3-line block ×3, first 2 shown]
	v_add_nc_u32_e32 v15, 56, v5
	v_mov_b32_e32 v16, v6
	v_add_co_u32 v7, vcc_lo, v0, v7
	s_waitcnt lgkmcnt(0)
	global_store_dword v[9:10], v17, off
	ds_read2_b32 v[9:10], v3 offset0:28 offset1:42
	ds_read_b32 v2, v3 offset:224
	v_add_co_ci_u32_e32 v8, vcc_lo, v1, v8, vcc_lo
	v_add_co_u32 v11, vcc_lo, v0, v11
	v_lshlrev_b64 v[15:16], 2, v[15:16]
	v_add_co_ci_u32_e32 v12, vcc_lo, v1, v12, vcc_lo
	v_add_co_u32 v13, vcc_lo, v0, v13
	v_add_co_ci_u32_e32 v14, vcc_lo, v1, v14, vcc_lo
	v_add_co_u32 v15, vcc_lo, v0, v15
	v_add_co_ci_u32_e32 v16, vcc_lo, v1, v16, vcc_lo
	v_cmp_eq_u32_e32 vcc_lo, 13, v5
	global_store_dword v[7:8], v18, off
	s_waitcnt lgkmcnt(1)
	global_store_dword v[11:12], v9, off
	global_store_dword v[13:14], v10, off
	s_waitcnt lgkmcnt(0)
	global_store_dword v[15:16], v2, off
	s_and_b32 exec_lo, exec_lo, vcc_lo
	s_cbranch_execz .LBB0_27
; %bb.26:
	ds_read_b32 v2, v3 offset:228
	s_waitcnt lgkmcnt(0)
	global_store_dword v[0:1], v2, off offset:280
.LBB0_27:
	s_endpgm
	.section	.rodata,"a",@progbits
	.p2align	6, 0x0
	.amdhsa_kernel fft_rtc_fwd_len70_factors_2_5_7_wgs_252_tpt_14_halfLds_half_op_CI_CI_unitstride_sbrr_R2C_dirReg
		.amdhsa_group_segment_fixed_size 0
		.amdhsa_private_segment_fixed_size 0
		.amdhsa_kernarg_size 104
		.amdhsa_user_sgpr_count 6
		.amdhsa_user_sgpr_private_segment_buffer 1
		.amdhsa_user_sgpr_dispatch_ptr 0
		.amdhsa_user_sgpr_queue_ptr 0
		.amdhsa_user_sgpr_kernarg_segment_ptr 1
		.amdhsa_user_sgpr_dispatch_id 0
		.amdhsa_user_sgpr_flat_scratch_init 0
		.amdhsa_user_sgpr_private_segment_size 0
		.amdhsa_wavefront_size32 1
		.amdhsa_uses_dynamic_stack 0
		.amdhsa_system_sgpr_private_segment_wavefront_offset 0
		.amdhsa_system_sgpr_workgroup_id_x 1
		.amdhsa_system_sgpr_workgroup_id_y 0
		.amdhsa_system_sgpr_workgroup_id_z 0
		.amdhsa_system_sgpr_workgroup_info 0
		.amdhsa_system_vgpr_workitem_id 0
		.amdhsa_next_free_vgpr 43
		.amdhsa_next_free_sgpr 27
		.amdhsa_reserve_vcc 1
		.amdhsa_reserve_flat_scratch 0
		.amdhsa_float_round_mode_32 0
		.amdhsa_float_round_mode_16_64 0
		.amdhsa_float_denorm_mode_32 3
		.amdhsa_float_denorm_mode_16_64 3
		.amdhsa_dx10_clamp 1
		.amdhsa_ieee_mode 1
		.amdhsa_fp16_overflow 0
		.amdhsa_workgroup_processor_mode 1
		.amdhsa_memory_ordered 1
		.amdhsa_forward_progress 0
		.amdhsa_shared_vgpr_count 0
		.amdhsa_exception_fp_ieee_invalid_op 0
		.amdhsa_exception_fp_denorm_src 0
		.amdhsa_exception_fp_ieee_div_zero 0
		.amdhsa_exception_fp_ieee_overflow 0
		.amdhsa_exception_fp_ieee_underflow 0
		.amdhsa_exception_fp_ieee_inexact 0
		.amdhsa_exception_int_div_zero 0
	.end_amdhsa_kernel
	.text
.Lfunc_end0:
	.size	fft_rtc_fwd_len70_factors_2_5_7_wgs_252_tpt_14_halfLds_half_op_CI_CI_unitstride_sbrr_R2C_dirReg, .Lfunc_end0-fft_rtc_fwd_len70_factors_2_5_7_wgs_252_tpt_14_halfLds_half_op_CI_CI_unitstride_sbrr_R2C_dirReg
                                        ; -- End function
	.section	.AMDGPU.csdata,"",@progbits
; Kernel info:
; codeLenInByte = 4412
; NumSgprs: 29
; NumVgprs: 43
; ScratchSize: 0
; MemoryBound: 0
; FloatMode: 240
; IeeeMode: 1
; LDSByteSize: 0 bytes/workgroup (compile time only)
; SGPRBlocks: 3
; VGPRBlocks: 5
; NumSGPRsForWavesPerEU: 29
; NumVGPRsForWavesPerEU: 43
; Occupancy: 16
; WaveLimiterHint : 1
; COMPUTE_PGM_RSRC2:SCRATCH_EN: 0
; COMPUTE_PGM_RSRC2:USER_SGPR: 6
; COMPUTE_PGM_RSRC2:TRAP_HANDLER: 0
; COMPUTE_PGM_RSRC2:TGID_X_EN: 1
; COMPUTE_PGM_RSRC2:TGID_Y_EN: 0
; COMPUTE_PGM_RSRC2:TGID_Z_EN: 0
; COMPUTE_PGM_RSRC2:TIDIG_COMP_CNT: 0
	.text
	.p2alignl 6, 3214868480
	.fill 48, 4, 3214868480
	.type	__hip_cuid_da3fb9def33c922e,@object ; @__hip_cuid_da3fb9def33c922e
	.section	.bss,"aw",@nobits
	.globl	__hip_cuid_da3fb9def33c922e
__hip_cuid_da3fb9def33c922e:
	.byte	0                               ; 0x0
	.size	__hip_cuid_da3fb9def33c922e, 1

	.ident	"AMD clang version 19.0.0git (https://github.com/RadeonOpenCompute/llvm-project roc-6.4.0 25133 c7fe45cf4b819c5991fe208aaa96edf142730f1d)"
	.section	".note.GNU-stack","",@progbits
	.addrsig
	.addrsig_sym __hip_cuid_da3fb9def33c922e
	.amdgpu_metadata
---
amdhsa.kernels:
  - .args:
      - .actual_access:  read_only
        .address_space:  global
        .offset:         0
        .size:           8
        .value_kind:     global_buffer
      - .offset:         8
        .size:           8
        .value_kind:     by_value
      - .actual_access:  read_only
        .address_space:  global
        .offset:         16
        .size:           8
        .value_kind:     global_buffer
      - .actual_access:  read_only
        .address_space:  global
        .offset:         24
        .size:           8
        .value_kind:     global_buffer
      - .actual_access:  read_only
        .address_space:  global
        .offset:         32
        .size:           8
        .value_kind:     global_buffer
      - .offset:         40
        .size:           8
        .value_kind:     by_value
      - .actual_access:  read_only
        .address_space:  global
        .offset:         48
        .size:           8
        .value_kind:     global_buffer
      - .actual_access:  read_only
        .address_space:  global
        .offset:         56
        .size:           8
        .value_kind:     global_buffer
      - .offset:         64
        .size:           4
        .value_kind:     by_value
      - .actual_access:  read_only
        .address_space:  global
        .offset:         72
        .size:           8
        .value_kind:     global_buffer
      - .actual_access:  read_only
        .address_space:  global
        .offset:         80
        .size:           8
        .value_kind:     global_buffer
      - .actual_access:  read_only
        .address_space:  global
        .offset:         88
        .size:           8
        .value_kind:     global_buffer
      - .actual_access:  write_only
        .address_space:  global
        .offset:         96
        .size:           8
        .value_kind:     global_buffer
    .group_segment_fixed_size: 0
    .kernarg_segment_align: 8
    .kernarg_segment_size: 104
    .language:       OpenCL C
    .language_version:
      - 2
      - 0
    .max_flat_workgroup_size: 252
    .name:           fft_rtc_fwd_len70_factors_2_5_7_wgs_252_tpt_14_halfLds_half_op_CI_CI_unitstride_sbrr_R2C_dirReg
    .private_segment_fixed_size: 0
    .sgpr_count:     29
    .sgpr_spill_count: 0
    .symbol:         fft_rtc_fwd_len70_factors_2_5_7_wgs_252_tpt_14_halfLds_half_op_CI_CI_unitstride_sbrr_R2C_dirReg.kd
    .uniform_work_group_size: 1
    .uses_dynamic_stack: false
    .vgpr_count:     43
    .vgpr_spill_count: 0
    .wavefront_size: 32
    .workgroup_processor_mode: 1
amdhsa.target:   amdgcn-amd-amdhsa--gfx1030
amdhsa.version:
  - 1
  - 2
...

	.end_amdgpu_metadata
